;; amdgpu-corpus repo=ROCm/rocFFT kind=compiled arch=gfx1030 opt=O3
	.text
	.amdgcn_target "amdgcn-amd-amdhsa--gfx1030"
	.amdhsa_code_object_version 6
	.protected	fft_rtc_back_len135_factors_5_3_3_3_wgs_126_tpt_9_halfLds_half_ip_CI_unitstride_sbrr_dirReg ; -- Begin function fft_rtc_back_len135_factors_5_3_3_3_wgs_126_tpt_9_halfLds_half_ip_CI_unitstride_sbrr_dirReg
	.globl	fft_rtc_back_len135_factors_5_3_3_3_wgs_126_tpt_9_halfLds_half_ip_CI_unitstride_sbrr_dirReg
	.p2align	8
	.type	fft_rtc_back_len135_factors_5_3_3_3_wgs_126_tpt_9_halfLds_half_ip_CI_unitstride_sbrr_dirReg,@function
fft_rtc_back_len135_factors_5_3_3_3_wgs_126_tpt_9_halfLds_half_ip_CI_unitstride_sbrr_dirReg: ; @fft_rtc_back_len135_factors_5_3_3_3_wgs_126_tpt_9_halfLds_half_ip_CI_unitstride_sbrr_dirReg
; %bb.0:
	s_load_dwordx4 s[8:11], s[4:5], 0x0
	v_mul_u32_u24_e32 v1, 0x1c72, v0
	s_clause 0x1
	s_load_dwordx2 s[2:3], s[4:5], 0x50
	s_load_dwordx2 s[12:13], s[4:5], 0x18
	v_lshrrev_b32_e32 v2, 16, v1
	v_mov_b32_e32 v1, 0
	v_mad_u64_u32 v[5:6], null, s6, 14, v[2:3]
	v_mov_b32_e32 v6, v1
	v_mov_b32_e32 v3, 0
	;; [unrolled: 1-line block ×5, first 2 shown]
	s_waitcnt lgkmcnt(0)
	v_cmp_lt_u64_e64 s0, s[10:11], 2
	s_and_b32 vcc_lo, exec_lo, s0
	s_cbranch_vccnz .LBB0_8
; %bb.1:
	s_load_dwordx2 s[0:1], s[4:5], 0x10
	v_mov_b32_e32 v3, 0
	v_mov_b32_e32 v7, v6
	s_add_u32 s6, s12, 8
	v_mov_b32_e32 v4, 0
	v_mov_b32_e32 v6, v5
	s_addc_u32 s7, s13, 0
	s_mov_b64 s[16:17], 1
	s_waitcnt lgkmcnt(0)
	s_add_u32 s14, s0, 8
	s_addc_u32 s15, s1, 0
.LBB0_2:                                ; =>This Inner Loop Header: Depth=1
	s_load_dwordx2 s[18:19], s[14:15], 0x0
                                        ; implicit-def: $vgpr8_vgpr9
	s_mov_b32 s0, exec_lo
	s_waitcnt lgkmcnt(0)
	v_or_b32_e32 v2, s19, v7
	v_cmpx_ne_u64_e32 0, v[1:2]
	s_xor_b32 s1, exec_lo, s0
	s_cbranch_execz .LBB0_4
; %bb.3:                                ;   in Loop: Header=BB0_2 Depth=1
	v_cvt_f32_u32_e32 v2, s18
	v_cvt_f32_u32_e32 v8, s19
	s_sub_u32 s0, 0, s18
	s_subb_u32 s20, 0, s19
	v_fmac_f32_e32 v2, 0x4f800000, v8
	v_rcp_f32_e32 v2, v2
	v_mul_f32_e32 v2, 0x5f7ffffc, v2
	v_mul_f32_e32 v8, 0x2f800000, v2
	v_trunc_f32_e32 v8, v8
	v_fmac_f32_e32 v2, 0xcf800000, v8
	v_cvt_u32_f32_e32 v8, v8
	v_cvt_u32_f32_e32 v2, v2
	v_mul_lo_u32 v9, s0, v8
	v_mul_hi_u32 v10, s0, v2
	v_mul_lo_u32 v11, s20, v2
	v_add_nc_u32_e32 v9, v10, v9
	v_mul_lo_u32 v10, s0, v2
	v_add_nc_u32_e32 v9, v9, v11
	v_mul_hi_u32 v11, v2, v10
	v_mul_lo_u32 v12, v2, v9
	v_mul_hi_u32 v13, v2, v9
	v_mul_hi_u32 v14, v8, v10
	v_mul_lo_u32 v10, v8, v10
	v_mul_hi_u32 v15, v8, v9
	v_mul_lo_u32 v9, v8, v9
	v_add_co_u32 v11, vcc_lo, v11, v12
	v_add_co_ci_u32_e32 v12, vcc_lo, 0, v13, vcc_lo
	v_add_co_u32 v10, vcc_lo, v11, v10
	v_add_co_ci_u32_e32 v10, vcc_lo, v12, v14, vcc_lo
	v_add_co_ci_u32_e32 v11, vcc_lo, 0, v15, vcc_lo
	v_add_co_u32 v9, vcc_lo, v10, v9
	v_add_co_ci_u32_e32 v10, vcc_lo, 0, v11, vcc_lo
	v_add_co_u32 v2, vcc_lo, v2, v9
	v_add_co_ci_u32_e32 v8, vcc_lo, v8, v10, vcc_lo
	v_mul_hi_u32 v9, s0, v2
	v_mul_lo_u32 v11, s20, v2
	v_mul_lo_u32 v10, s0, v8
	v_add_nc_u32_e32 v9, v9, v10
	v_mul_lo_u32 v10, s0, v2
	v_add_nc_u32_e32 v9, v9, v11
	v_mul_hi_u32 v11, v2, v10
	v_mul_lo_u32 v12, v2, v9
	v_mul_hi_u32 v13, v2, v9
	v_mul_hi_u32 v14, v8, v10
	v_mul_lo_u32 v10, v8, v10
	v_mul_hi_u32 v15, v8, v9
	v_mul_lo_u32 v9, v8, v9
	v_add_co_u32 v11, vcc_lo, v11, v12
	v_add_co_ci_u32_e32 v12, vcc_lo, 0, v13, vcc_lo
	v_add_co_u32 v10, vcc_lo, v11, v10
	v_add_co_ci_u32_e32 v10, vcc_lo, v12, v14, vcc_lo
	v_add_co_ci_u32_e32 v11, vcc_lo, 0, v15, vcc_lo
	v_add_co_u32 v9, vcc_lo, v10, v9
	v_add_co_ci_u32_e32 v10, vcc_lo, 0, v11, vcc_lo
	v_add_co_u32 v2, vcc_lo, v2, v9
	v_add_co_ci_u32_e32 v12, vcc_lo, v8, v10, vcc_lo
	v_mul_hi_u32 v14, v6, v2
	v_mad_u64_u32 v[10:11], null, v7, v2, 0
	v_mad_u64_u32 v[8:9], null, v6, v12, 0
	v_mad_u64_u32 v[12:13], null, v7, v12, 0
	v_add_co_u32 v2, vcc_lo, v14, v8
	v_add_co_ci_u32_e32 v8, vcc_lo, 0, v9, vcc_lo
	v_add_co_u32 v2, vcc_lo, v2, v10
	v_add_co_ci_u32_e32 v2, vcc_lo, v8, v11, vcc_lo
	v_add_co_ci_u32_e32 v8, vcc_lo, 0, v13, vcc_lo
	v_add_co_u32 v2, vcc_lo, v2, v12
	v_add_co_ci_u32_e32 v10, vcc_lo, 0, v8, vcc_lo
	v_mul_lo_u32 v11, s19, v2
	v_mad_u64_u32 v[8:9], null, s18, v2, 0
	v_mul_lo_u32 v12, s18, v10
	v_sub_co_u32 v8, vcc_lo, v6, v8
	v_add3_u32 v9, v9, v12, v11
	v_sub_nc_u32_e32 v11, v7, v9
	v_subrev_co_ci_u32_e64 v11, s0, s19, v11, vcc_lo
	v_add_co_u32 v12, s0, v2, 2
	v_add_co_ci_u32_e64 v13, s0, 0, v10, s0
	v_sub_co_u32 v14, s0, v8, s18
	v_sub_co_ci_u32_e32 v9, vcc_lo, v7, v9, vcc_lo
	v_subrev_co_ci_u32_e64 v11, s0, 0, v11, s0
	v_cmp_le_u32_e32 vcc_lo, s18, v14
	v_cmp_eq_u32_e64 s0, s19, v9
	v_cndmask_b32_e64 v14, 0, -1, vcc_lo
	v_cmp_le_u32_e32 vcc_lo, s19, v11
	v_cndmask_b32_e64 v15, 0, -1, vcc_lo
	v_cmp_le_u32_e32 vcc_lo, s18, v8
	;; [unrolled: 2-line block ×3, first 2 shown]
	v_cndmask_b32_e64 v16, 0, -1, vcc_lo
	v_cmp_eq_u32_e32 vcc_lo, s19, v11
	v_cndmask_b32_e64 v8, v16, v8, s0
	v_cndmask_b32_e32 v11, v15, v14, vcc_lo
	v_add_co_u32 v14, vcc_lo, v2, 1
	v_add_co_ci_u32_e32 v15, vcc_lo, 0, v10, vcc_lo
	v_cmp_ne_u32_e32 vcc_lo, 0, v11
	v_cndmask_b32_e32 v9, v15, v13, vcc_lo
	v_cndmask_b32_e32 v11, v14, v12, vcc_lo
	v_cmp_ne_u32_e32 vcc_lo, 0, v8
	v_cndmask_b32_e32 v9, v10, v9, vcc_lo
	v_cndmask_b32_e32 v8, v2, v11, vcc_lo
.LBB0_4:                                ;   in Loop: Header=BB0_2 Depth=1
	s_andn2_saveexec_b32 s0, s1
	s_cbranch_execz .LBB0_6
; %bb.5:                                ;   in Loop: Header=BB0_2 Depth=1
	v_cvt_f32_u32_e32 v2, s18
	s_sub_i32 s1, 0, s18
	v_rcp_iflag_f32_e32 v2, v2
	v_mul_f32_e32 v2, 0x4f7ffffe, v2
	v_cvt_u32_f32_e32 v2, v2
	v_mul_lo_u32 v8, s1, v2
	v_mul_hi_u32 v8, v2, v8
	v_add_nc_u32_e32 v2, v2, v8
	v_mul_hi_u32 v2, v6, v2
	v_mul_lo_u32 v8, v2, s18
	v_add_nc_u32_e32 v9, 1, v2
	v_sub_nc_u32_e32 v8, v6, v8
	v_subrev_nc_u32_e32 v10, s18, v8
	v_cmp_le_u32_e32 vcc_lo, s18, v8
	v_cndmask_b32_e32 v8, v8, v10, vcc_lo
	v_cndmask_b32_e32 v2, v2, v9, vcc_lo
	v_cmp_le_u32_e32 vcc_lo, s18, v8
	v_add_nc_u32_e32 v9, 1, v2
	v_cndmask_b32_e32 v8, v2, v9, vcc_lo
	v_mov_b32_e32 v9, v1
.LBB0_6:                                ;   in Loop: Header=BB0_2 Depth=1
	s_or_b32 exec_lo, exec_lo, s0
	s_load_dwordx2 s[0:1], s[6:7], 0x0
	v_mul_lo_u32 v2, v9, s18
	v_mul_lo_u32 v12, v8, s19
	v_mad_u64_u32 v[10:11], null, v8, s18, 0
	s_add_u32 s16, s16, 1
	s_addc_u32 s17, s17, 0
	s_add_u32 s6, s6, 8
	s_addc_u32 s7, s7, 0
	;; [unrolled: 2-line block ×3, first 2 shown]
	v_add3_u32 v2, v11, v12, v2
	v_sub_co_u32 v6, vcc_lo, v6, v10
	v_sub_co_ci_u32_e32 v2, vcc_lo, v7, v2, vcc_lo
	s_waitcnt lgkmcnt(0)
	v_mul_lo_u32 v7, s1, v6
	v_mul_lo_u32 v2, s0, v2
	v_mad_u64_u32 v[3:4], null, s0, v6, v[3:4]
	v_cmp_ge_u64_e64 s0, s[16:17], s[10:11]
	s_and_b32 vcc_lo, exec_lo, s0
	v_add3_u32 v4, v7, v4, v2
	s_cbranch_vccnz .LBB0_8
; %bb.7:                                ;   in Loop: Header=BB0_2 Depth=1
	v_mov_b32_e32 v6, v8
	v_mov_b32_e32 v7, v9
	s_branch .LBB0_2
.LBB0_8:
	s_lshl_b64 s[0:1], s[10:11], 3
                                        ; implicit-def: $vgpr10
                                        ; implicit-def: $vgpr16
                                        ; implicit-def: $vgpr11
                                        ; implicit-def: $vgpr15
                                        ; implicit-def: $vgpr12
                                        ; implicit-def: $vgpr17
                                        ; implicit-def: $vgpr13
                                        ; implicit-def: $vgpr14
                                        ; implicit-def: $vgpr21
                                        ; implicit-def: $vgpr25
                                        ; implicit-def: $vgpr22
                                        ; implicit-def: $vgpr19
                                        ; implicit-def: $vgpr23
                                        ; implicit-def: $vgpr18
                                        ; implicit-def: $vgpr24
                                        ; implicit-def: $vgpr20
                                        ; implicit-def: $vgpr30
                                        ; implicit-def: $vgpr28
                                        ; implicit-def: $vgpr31
                                        ; implicit-def: $vgpr27
                                        ; implicit-def: $vgpr32
                                        ; implicit-def: $vgpr26
                                        ; implicit-def: $vgpr33
                                        ; implicit-def: $vgpr29
	s_add_u32 s0, s12, s0
	s_addc_u32 s1, s13, s1
	s_load_dwordx2 s[0:1], s[0:1], 0x0
	s_load_dwordx2 s[4:5], s[4:5], 0x20
	s_waitcnt lgkmcnt(0)
	v_mul_lo_u32 v6, s0, v9
	v_mul_lo_u32 v7, s1, v8
	v_mad_u64_u32 v[1:2], null, s0, v8, v[3:4]
	v_mul_hi_u32 v3, 0x1c71c71d, v0
	v_cmp_gt_u64_e32 vcc_lo, s[4:5], v[8:9]
                                        ; implicit-def: $vgpr8
                                        ; implicit-def: $vgpr4
                                        ; implicit-def: $vgpr9
	v_add3_u32 v2, v7, v2, v6
                                        ; implicit-def: $vgpr7
                                        ; implicit-def: $vgpr6
	v_mul_u32_u24_e32 v3, 9, v3
	v_lshlrev_b64 v[1:2], 2, v[1:2]
	v_sub_nc_u32_e32 v3, v0, v3
                                        ; implicit-def: $vgpr0
	s_and_saveexec_b32 s1, vcc_lo
	s_cbranch_execz .LBB0_10
; %bb.9:
	v_mov_b32_e32 v4, 0
	v_add_co_u32 v0, s0, s2, v1
	v_lshlrev_b64 v[6:7], 2, v[3:4]
	v_add_co_ci_u32_e64 v4, s0, s3, v2, s0
	v_add_co_u32 v10, s0, v0, v6
	v_add_co_ci_u32_e64 v11, s0, v4, v7, s0
	s_clause 0xe
	global_load_dword v29, v[10:11], off offset:108
	global_load_dword v26, v[10:11], off offset:216
	global_load_dword v9, v[10:11], off
	global_load_dword v27, v[10:11], off offset:324
	global_load_dword v28, v[10:11], off offset:432
	;; [unrolled: 1-line block ×12, first 2 shown]
	s_waitcnt vmcnt(14)
	v_lshrrev_b32_e32 v33, 16, v29
	s_waitcnt vmcnt(13)
	v_lshrrev_b32_e32 v32, 16, v26
	;; [unrolled: 2-line block ×15, first 2 shown]
.LBB0_10:
	s_or_b32 exec_lo, exec_lo, s1
	v_lshrrev_b32_e32 v34, 1, v5
	v_add_f16_e32 v36, v27, v26
	v_sub_f16_e32 v37, v33, v30
	v_sub_f16_e32 v39, v29, v26
	;; [unrolled: 1-line block ×3, first 2 shown]
	v_mul_hi_u32 v34, 0x92492493, v34
	v_fma_f16 v36, -0.5, v36, v9
	v_sub_f16_e32 v38, v32, v31
	v_add_f16_e32 v41, v28, v29
	v_add_f16_e32 v39, v40, v39
	;; [unrolled: 1-line block ×3, first 2 shown]
	v_fmamk_f16 v40, v37, 0xbb9c, v36
	v_fmac_f16_e32 v36, 0x3b9c, v37
	v_lshrrev_b32_e32 v34, 2, v34
	v_add_f16_e32 v35, v29, v9
	v_sub_f16_e32 v42, v26, v29
	v_fmac_f16_e32 v40, 0xb8b4, v38
	v_fmac_f16_e32 v36, 0x38b4, v38
	v_mul_lo_u32 v34, v34, 14
	v_sub_f16_e32 v43, v27, v28
	v_add_f16_e32 v45, v31, v32
	v_fmac_f16_e32 v9, -0.5, v41
	v_fmac_f16_e32 v40, 0x34f2, v39
	v_fmac_f16_e32 v36, 0x34f2, v39
	v_add_f16_e32 v39, v32, v44
	v_add_f16_e32 v44, v30, v33
	;; [unrolled: 1-line block ×4, first 2 shown]
	v_fma_f16 v42, -0.5, v45, v4
	v_sub_nc_u32_e32 v5, v5, v34
	v_fmamk_f16 v34, v38, 0x3b9c, v9
	v_sub_f16_e32 v26, v26, v27
	v_fmac_f16_e32 v9, 0xbb9c, v38
	v_add_f16_e32 v38, v31, v39
	v_fmac_f16_e32 v4, -0.5, v44
	v_sub_f16_e32 v29, v29, v28
	v_add_f16_e32 v35, v27, v35
	v_fmac_f16_e32 v34, 0xb8b4, v37
	v_sub_f16_e32 v27, v33, v32
	v_sub_f16_e32 v43, v30, v31
	v_fmac_f16_e32 v9, 0x38b4, v37
	v_add_f16_e32 v37, v30, v38
	v_fmamk_f16 v38, v26, 0xbb9c, v4
	v_sub_f16_e32 v32, v32, v33
	v_sub_f16_e32 v30, v31, v30
	v_fmac_f16_e32 v4, 0x3b9c, v26
	v_add_f16_e32 v28, v28, v35
	v_mul_f16_e32 v35, 0x34f2, v41
	v_fmamk_f16 v41, v29, 0x3b9c, v42
	v_fmac_f16_e32 v42, 0xbb9c, v29
	v_add_f16_e32 v31, v20, v0
	v_add_f16_e32 v33, v19, v18
	v_fmac_f16_e32 v38, 0x38b4, v29
	v_add_f16_e32 v30, v30, v32
	v_fmac_f16_e32 v4, 0xb8b4, v29
	v_fmac_f16_e32 v41, 0x38b4, v26
	;; [unrolled: 1-line block ×3, first 2 shown]
	v_add_f16_e32 v26, v18, v31
	v_fma_f16 v31, -0.5, v33, v0
	v_fmac_f16_e32 v38, 0x34f2, v30
	v_sub_f16_e32 v33, v20, v18
	v_sub_f16_e32 v39, v25, v19
	v_fmac_f16_e32 v4, 0x34f2, v30
	v_add_f16_e32 v30, v25, v20
	v_add_f16_e32 v27, v43, v27
	v_sub_f16_e32 v32, v24, v21
	v_add_f16_e32 v33, v39, v33
	v_sub_f16_e32 v39, v19, v25
	v_fmac_f16_e32 v0, -0.5, v30
	v_sub_f16_e32 v30, v18, v20
	v_add_f16_e32 v26, v19, v26
	v_fmac_f16_e32 v41, 0x34f2, v27
	v_fmac_f16_e32 v42, 0x34f2, v27
	v_fmamk_f16 v27, v32, 0xbb9c, v31
	v_add_f16_e32 v30, v39, v30
	v_add_f16_e32 v39, v24, v8
	v_sub_f16_e32 v29, v23, v22
	v_add_f16_e32 v26, v25, v26
	v_fmac_f16_e32 v31, 0x3b9c, v32
	v_add_f16_e32 v43, v22, v23
	v_sub_f16_e32 v20, v20, v25
	v_mul_f16_e32 v25, 0x34f2, v30
	v_add_f16_e32 v30, v23, v39
	v_fmac_f16_e32 v27, 0xb8b4, v29
	v_fmac_f16_e32 v31, 0x38b4, v29
	v_fmamk_f16 v44, v29, 0x3b9c, v0
	v_fma_f16 v43, -0.5, v43, v8
	v_fmac_f16_e32 v0, 0xbb9c, v29
	v_add_f16_e32 v29, v21, v24
	v_add_f16_e32 v30, v22, v30
	v_fmac_f16_e32 v27, 0x34f2, v33
	v_fmac_f16_e32 v31, 0x34f2, v33
	v_fmamk_f16 v33, v20, 0x3b9c, v43
	v_sub_f16_e32 v18, v18, v19
	v_sub_f16_e32 v19, v24, v23
	;; [unrolled: 1-line block ×3, first 2 shown]
	v_fmac_f16_e32 v43, 0xbb9c, v20
	v_fmac_f16_e32 v8, -0.5, v29
	v_add_f16_e32 v29, v21, v30
	v_sub_f16_e32 v23, v23, v24
	v_sub_f16_e32 v21, v22, v21
	v_fmac_f16_e32 v44, 0xb8b4, v32
	v_fmac_f16_e32 v33, 0x38b4, v18
	;; [unrolled: 1-line block ×4, first 2 shown]
	v_fmamk_f16 v30, v18, 0xbb9c, v8
	v_fmac_f16_e32 v8, 0x3b9c, v18
	v_add_f16_e32 v18, v14, v6
	v_add_f16_e32 v22, v15, v17
	;; [unrolled: 1-line block ×3, first 2 shown]
	v_sub_f16_e32 v23, v14, v17
	v_sub_f16_e32 v24, v16, v15
	v_add_f16_e32 v32, v16, v14
	v_add_f16_e32 v19, v39, v19
	v_fmac_f16_e32 v30, 0x38b4, v20
	v_fmac_f16_e32 v8, 0xb8b4, v20
	v_add_f16_e32 v18, v17, v18
	v_fma_f16 v20, -0.5, v22, v6
	v_sub_f16_e32 v22, v13, v10
	v_add_f16_e32 v23, v24, v23
	v_fmac_f16_e32 v6, -0.5, v32
	v_sub_f16_e32 v24, v17, v14
	v_sub_f16_e32 v32, v15, v16
	v_fmac_f16_e32 v33, 0x34f2, v19
	v_fmac_f16_e32 v43, 0x34f2, v19
	;; [unrolled: 1-line block ×4, first 2 shown]
	v_add_f16_e32 v18, v15, v18
	v_fmamk_f16 v19, v22, 0xbb9c, v20
	v_sub_f16_e32 v21, v12, v11
	v_fmac_f16_e32 v20, 0x3b9c, v22
	v_add_f16_e32 v39, v11, v12
	v_add_f16_e32 v24, v32, v24
	;; [unrolled: 1-line block ×4, first 2 shown]
	v_fmac_f16_e32 v19, 0xb8b4, v21
	v_fmac_f16_e32 v20, 0x38b4, v21
	v_fma_f16 v39, -0.5, v39, v7
	v_sub_f16_e32 v16, v14, v16
	v_add_f16_e32 v14, v12, v32
	v_mul_u32_u24_e32 v5, 0x87, v5
	v_fmac_f16_e32 v19, 0x34f2, v23
	v_fmac_f16_e32 v20, 0x34f2, v23
	v_fmamk_f16 v23, v21, 0x3b9c, v6
	v_fmac_f16_e32 v6, 0xbb9c, v21
	v_fmamk_f16 v21, v16, 0x3b9c, v39
	v_sub_f16_e32 v15, v17, v15
	v_sub_f16_e32 v17, v13, v12
	;; [unrolled: 1-line block ×3, first 2 shown]
	v_fmac_f16_e32 v39, 0xbb9c, v16
	v_add_f16_e32 v14, v11, v14
	v_add_f16_e32 v45, v10, v13
	v_fmac_f16_e32 v23, 0xb8b4, v22
	v_fmac_f16_e32 v21, 0x38b4, v15
	v_add_f16_e32 v17, v32, v17
	v_fmac_f16_e32 v39, 0xb8b4, v15
	v_fmac_f16_e32 v6, 0x38b4, v22
	v_fmac_f16_e32 v7, -0.5, v45
	v_add_f16_e32 v22, v10, v14
	v_lshlrev_b32_e32 v14, 1, v5
	v_fmac_f16_e32 v21, 0x34f2, v17
	v_fmac_f16_e32 v39, 0x34f2, v17
	v_fmamk_f16 v17, v15, 0xbb9c, v7
	v_sub_f16_e32 v5, v12, v13
	v_sub_f16_e32 v10, v11, v10
	v_fmac_f16_e32 v7, 0x3b9c, v15
	v_add_nc_u32_e32 v15, 0, v14
	v_pack_b32_f16 v9, v34, v9
	v_fmac_f16_e32 v17, 0x38b4, v16
	v_add_f16_e32 v5, v10, v5
	v_fmac_f16_e32 v7, 0xb8b4, v16
	v_mad_u32_u24 v16, v3, 10, v15
	v_pk_add_f16 v10, v35, v9 op_sel_hi:[0,1]
	v_pack_b32_f16 v9, v28, v40
	v_pack_b32_f16 v0, v44, v0
	v_mul_f16_e32 v24, 0x34f2, v24
	v_pack_b32_f16 v6, v23, v6
	v_pack_b32_f16 v11, v18, v19
	ds_write_b64 v16, v[9:10]
	v_pk_add_f16 v10, v25, v0 op_sel_hi:[0,1]
	v_pack_b32_f16 v9, v26, v27
	v_pk_add_f16 v12, v24, v6 op_sel_hi:[0,1]
	ds_write_b16 v16, v36 offset:8
	v_lshlrev_b32_e32 v6, 1, v3
	ds_write_b64 v16, v[9:10] offset:90
	ds_write_b16 v16, v31 offset:98
	ds_write_b64 v16, v[11:12] offset:180
	ds_write_b16 v16, v20 offset:188
	v_add_nc_u32_e32 v10, -5, v3
	v_cmp_gt_u32_e64 s0, 5, v3
	v_fmac_f16_e32 v17, 0x34f2, v5
	v_fmac_f16_e32 v7, 0x34f2, v5
	v_add3_u32 v0, 0, v6, v14
	v_pack_b32_f16 v5, v38, v4
	v_pack_b32_f16 v4, v37, v41
	v_cndmask_b32_e64 v10, v10, v3, s0
	v_add_nc_u32_e32 v9, v15, v6
	s_waitcnt lgkmcnt(0)
	s_barrier
	buffer_gl0_inv
	ds_read_u16 v23, v0 offset:108
	ds_read_u16 v24, v0 offset:126
	;; [unrolled: 1-line block ×3, first 2 shown]
	ds_read_u16 v26, v9
	ds_read_u16 v27, v0 offset:18
	ds_read_u16 v28, v0 offset:36
	;; [unrolled: 1-line block ×11, first 2 shown]
	s_waitcnt lgkmcnt(0)
	s_barrier
	buffer_gl0_inv
	ds_write_b64 v16, v[4:5]
	v_lshlrev_b32_e32 v4, 1, v10
	v_mov_b32_e32 v5, 0
	v_pack_b32_f16 v11, v30, v8
	v_pack_b32_f16 v10, v29, v33
	;; [unrolled: 1-line block ×4, first 2 shown]
	v_lshlrev_b64 v[12:13], 2, v[4:5]
	ds_write_b16 v16, v42 offset:8
	ds_write_b64 v16, v[10:11] offset:90
	ds_write_b16 v16, v43 offset:98
	ds_write_b64 v16, v[7:8] offset:180
	ds_write_b16 v16, v39 offset:188
	s_waitcnt lgkmcnt(0)
	s_barrier
	buffer_gl0_inv
	v_add_co_u32 v7, s0, s8, v12
	v_add_co_ci_u32_e64 v8, s0, s9, v13, s0
	v_add_nc_u32_e32 v13, 9, v3
	v_add_nc_u32_e32 v11, 18, v3
	v_mov_b32_e32 v30, 3
	global_load_dwordx2 v[7:8], v[7:8], off
	ds_read_u16 v41, v0 offset:90
	ds_read_u16 v47, v0 offset:180
	v_and_b32_e32 v10, 0xff, v13
	v_and_b32_e32 v16, 0xff, v11
	v_cmp_lt_u32_e64 s0, 4, v3
	v_mul_lo_u16 v12, 0xcd, v10
	v_add_nc_u32_e32 v10, 27, v3
	v_mul_lo_u16 v16, 0xcd, v16
	v_lshrrev_b16 v22, 10, v12
	v_and_b32_e32 v29, 0xff, v10
	v_lshrrev_b16 v38, 10, v16
	v_add_nc_u32_e32 v12, 36, v3
	v_mul_lo_u16 v17, v22, 5
	v_mul_lo_u16 v18, 0xcd, v29
	;; [unrolled: 1-line block ×3, first 2 shown]
	v_and_b32_e32 v37, 0xff, v12
	v_and_b32_e32 v22, 0xffff, v22
	v_sub_nc_u16 v33, v13, v17
	v_lshrrev_b16 v39, 10, v18
	v_sub_nc_u16 v43, v11, v19
	v_mul_lo_u16 v18, 0xcd, v37
	v_lshlrev_b32_sdwa v16, v30, v33 dst_sel:DWORD dst_unused:UNUSED_PAD src0_sel:DWORD src1_sel:BYTE_0
	v_mul_lo_u16 v20, v39, 5
	v_lshrrev_b16 v42, 10, v18
	v_lshlrev_b32_sdwa v18, v30, v43 dst_sel:DWORD dst_unused:UNUSED_PAD src0_sel:DWORD src1_sel:BYTE_0
	global_load_dwordx2 v[16:17], v16, s[8:9]
	v_sub_nc_u16 v48, v10, v20
	ds_read_u16 v50, v0 offset:108
	ds_read_u16 v51, v0 offset:126
	ds_read_u16 v52, v0 offset:72
	v_mul_lo_u16 v49, v42, 5
	v_lshlrev_b32_sdwa v20, v30, v48 dst_sel:DWORD dst_unused:UNUSED_PAD src0_sel:DWORD src1_sel:BYTE_0
	s_clause 0x1
	global_load_dwordx2 v[18:19], v18, s[8:9]
	global_load_dwordx2 v[20:21], v20, s[8:9]
	v_sub_nc_u16 v49, v12, v49
	ds_read_u16 v54, v0 offset:198
	ds_read_u16 v55, v0 offset:216
	;; [unrolled: 1-line block ×5, first 2 shown]
	s_waitcnt vmcnt(3) lgkmcnt(9)
	v_mul_f16_sdwa v53, v41, v7 dst_sel:DWORD dst_unused:UNUSED_PAD src0_sel:DWORD src1_sel:WORD_1
	v_mul_f16_sdwa v59, v32, v7 dst_sel:DWORD dst_unused:UNUSED_PAD src0_sel:DWORD src1_sel:WORD_1
	v_fmac_f16_e32 v53, v32, v7
	s_waitcnt lgkmcnt(8)
	v_mul_f16_sdwa v32, v47, v8 dst_sel:DWORD dst_unused:UNUSED_PAD src0_sel:DWORD src1_sel:WORD_1
	v_fma_f16 v41, v41, v7, -v59
	v_mul_f16_sdwa v7, v45, v8 dst_sel:DWORD dst_unused:UNUSED_PAD src0_sel:DWORD src1_sel:WORD_1
	v_fmac_f16_e32 v32, v45, v8
	v_lshlrev_b32_sdwa v45, v30, v49 dst_sel:DWORD dst_unused:UNUSED_PAD src0_sel:DWORD src1_sel:BYTE_0
	v_fma_f16 v47, v47, v8, -v7
	global_load_dwordx2 v[7:8], v45, s[8:9]
	s_waitcnt vmcnt(3) lgkmcnt(7)
	v_mul_f16_sdwa v45, v50, v16 dst_sel:DWORD dst_unused:UNUSED_PAD src0_sel:DWORD src1_sel:WORD_1
	v_mul_f16_sdwa v59, v23, v16 dst_sel:DWORD dst_unused:UNUSED_PAD src0_sel:DWORD src1_sel:WORD_1
	v_fmac_f16_e32 v45, v23, v16
	s_waitcnt lgkmcnt(4)
	v_mul_f16_sdwa v23, v54, v17 dst_sel:DWORD dst_unused:UNUSED_PAD src0_sel:DWORD src1_sel:WORD_1
	v_fma_f16 v16, v50, v16, -v59
	ds_read_u16 v50, v0 offset:144
	s_waitcnt vmcnt(2) lgkmcnt(4)
	v_mul_f16_sdwa v59, v55, v19 dst_sel:DWORD dst_unused:UNUSED_PAD src0_sel:DWORD src1_sel:WORD_1
	v_fmac_f16_e32 v23, v35, v17
	v_mul_f16_sdwa v35, v35, v17 dst_sel:DWORD dst_unused:UNUSED_PAD src0_sel:DWORD src1_sel:WORD_1
	v_fmac_f16_e32 v59, v36, v19
	v_fma_f16 v17, v54, v17, -v35
	v_mul_f16_sdwa v35, v51, v18 dst_sel:DWORD dst_unused:UNUSED_PAD src0_sel:DWORD src1_sel:WORD_1
	v_mul_f16_sdwa v54, v24, v18 dst_sel:DWORD dst_unused:UNUSED_PAD src0_sel:DWORD src1_sel:WORD_1
	v_fmac_f16_e32 v35, v24, v18
	v_mul_f16_sdwa v24, v36, v19 dst_sel:DWORD dst_unused:UNUSED_PAD src0_sel:DWORD src1_sel:WORD_1
	v_fma_f16 v18, v51, v18, -v54
	s_waitcnt vmcnt(1) lgkmcnt(3)
	v_mul_f16_sdwa v54, v56, v21 dst_sel:DWORD dst_unused:UNUSED_PAD src0_sel:DWORD src1_sel:WORD_1
	v_mov_b32_e32 v51, 1
	s_waitcnt lgkmcnt(0)
	v_mul_f16_sdwa v36, v50, v20 dst_sel:DWORD dst_unused:UNUSED_PAD src0_sel:DWORD src1_sel:WORD_1
	v_fma_f16 v19, v55, v19, -v24
	v_mul_f16_sdwa v24, v25, v20 dst_sel:DWORD dst_unused:UNUSED_PAD src0_sel:DWORD src1_sel:WORD_1
	v_mul_f16_sdwa v55, v40, v21 dst_sel:DWORD dst_unused:UNUSED_PAD src0_sel:DWORD src1_sel:WORD_1
	v_fmac_f16_e32 v54, v40, v21
	v_fmac_f16_e32 v36, v25, v20
	v_lshlrev_b32_sdwa v33, v51, v33 dst_sel:DWORD dst_unused:UNUSED_PAD src0_sel:DWORD src1_sel:BYTE_0
	v_fma_f16 v20, v50, v20, -v24
	ds_read_u16 v24, v9
	v_fma_f16 v21, v56, v21, -v55
	ds_read_u16 v50, v0 offset:18
	ds_read_u16 v55, v0 offset:36
	;; [unrolled: 1-line block ×3, first 2 shown]
	s_waitcnt vmcnt(0) lgkmcnt(0)
	s_barrier
	buffer_gl0_inv
	v_lshlrev_b32_sdwa v43, v51, v43 dst_sel:DWORD dst_unused:UNUSED_PAD src0_sel:DWORD src1_sel:BYTE_0
	v_lshlrev_b32_sdwa v48, v51, v48 dst_sel:DWORD dst_unused:UNUSED_PAD src0_sel:DWORD src1_sel:BYTE_0
	;; [unrolled: 1-line block ×3, first 2 shown]
	v_mul_f16_sdwa v25, v58, v7 dst_sel:DWORD dst_unused:UNUSED_PAD src0_sel:DWORD src1_sel:WORD_1
	v_mul_f16_sdwa v40, v46, v7 dst_sel:DWORD dst_unused:UNUSED_PAD src0_sel:DWORD src1_sel:WORD_1
	v_fmac_f16_e32 v25, v46, v7
	v_mul_f16_sdwa v46, v57, v8 dst_sel:DWORD dst_unused:UNUSED_PAD src0_sel:DWORD src1_sel:WORD_1
	v_fma_f16 v7, v58, v7, -v40
	v_mul_f16_sdwa v40, v44, v8 dst_sel:DWORD dst_unused:UNUSED_PAD src0_sel:DWORD src1_sel:WORD_1
	v_add_f16_e32 v58, v24, v41
	v_fmac_f16_e32 v46, v44, v8
	v_add_f16_e32 v44, v53, v32
	v_fma_f16 v8, v57, v8, -v40
	v_add_f16_e32 v40, v26, v53
	v_sub_f16_e32 v57, v41, v47
	v_add_f16_e32 v41, v41, v47
	v_sub_f16_e32 v53, v53, v32
	v_fmac_f16_e32 v26, -0.5, v44
	v_add_f16_e32 v32, v40, v32
	v_add_f16_e32 v40, v27, v45
	;; [unrolled: 1-line block ×4, first 2 shown]
	v_sub_f16_e32 v58, v16, v17
	v_fmac_f16_e32 v24, -0.5, v41
	v_add_f16_e32 v41, v50, v16
	v_add_f16_e32 v16, v16, v17
	v_sub_f16_e32 v45, v45, v23
	v_add_f16_e32 v23, v40, v23
	v_add_f16_e32 v40, v28, v35
	v_fmac_f16_e32 v27, -0.5, v44
	v_add_f16_e32 v44, v35, v59
	v_add_f16_e32 v17, v41, v17
	v_sub_f16_e32 v41, v18, v19
	v_fmac_f16_e32 v50, -0.5, v16
	v_add_f16_e32 v16, v55, v18
	v_add_f16_e32 v18, v18, v19
	v_sub_f16_e32 v35, v35, v59
	v_add_f16_e32 v40, v40, v59
	v_add_f16_e32 v59, v31, v36
	v_fmac_f16_e32 v28, -0.5, v44
	v_add_f16_e32 v44, v36, v54
	v_add_f16_e32 v16, v16, v19
	;; [unrolled: 10-line block ×3, first 2 shown]
	v_fmac_f16_e32 v56, -0.5, v20
	v_add_f16_e32 v20, v59, v46
	v_fmamk_f16 v59, v57, 0xbaee, v26
	v_fmac_f16_e32 v26, 0x3aee, v57
	v_fmamk_f16 v57, v53, 0x3aee, v24
	v_fmac_f16_e32 v24, 0xbaee, v53
	;; [unrolled: 2-line block ×8, first 2 shown]
	v_sub_f16_e32 v36, v7, v8
	v_add_f16_e32 v7, v52, v7
	v_fmac_f16_e32 v52, -0.5, v21
	v_cndmask_b32_e64 v21, 0, 30, s0
	v_add_f16_e32 v44, v25, v46
	v_sub_f16_e32 v25, v25, v46
	v_add_f16_e32 v7, v7, v8
	v_cmp_gt_u32_e64 s0, 6, v3
	v_add_nc_u32_e32 v8, 0, v21
	v_fmac_f16_e32 v34, -0.5, v44
	v_fmamk_f16 v21, v25, 0x3aee, v52
	v_fmac_f16_e32 v52, 0xbaee, v25
	v_and_b32_e32 v25, 0xffff, v39
	v_add3_u32 v4, v8, v4, v14
	v_mad_u32_u24 v8, v22, 30, 0
	v_and_b32_e32 v22, 0xffff, v38
	ds_write_b16 v4, v32
	ds_write_b16 v4, v59 offset:10
	v_add3_u32 v8, v8, v33, v14
	ds_write_b16 v4, v26 offset:20
	v_and_b32_e32 v26, 0xffff, v42
	v_mad_u32_u24 v22, v22, 30, 0
	v_fmamk_f16 v44, v36, 0xbaee, v34
	ds_write_b16 v8, v23
	v_mad_u32_u24 v23, v25, 30, 0
	v_mad_u32_u24 v25, v26, 30, 0
	v_add3_u32 v22, v22, v43, v14
	v_fmac_f16_e32 v34, 0x3aee, v36
	ds_write_b16 v8, v53 offset:10
	v_add3_u32 v23, v23, v48, v14
	v_add3_u32 v25, v25, v49, v14
	ds_write_b16 v8, v27 offset:20
	ds_write_b16 v22, v40
	ds_write_b16 v22, v45 offset:10
	ds_write_b16 v22, v28 offset:20
	ds_write_b16 v23, v54
	ds_write_b16 v23, v35 offset:10
	;; [unrolled: 3-line block ×3, first 2 shown]
	ds_write_b16 v25, v34 offset:20
	s_waitcnt lgkmcnt(0)
	s_barrier
	buffer_gl0_inv
	ds_read_u16 v26, v0 offset:108
	ds_read_u16 v27, v0 offset:126
	;; [unrolled: 1-line block ×3, first 2 shown]
	ds_read_u16 v31, v9
	ds_read_u16 v32, v0 offset:18
	ds_read_u16 v33, v0 offset:36
	;; [unrolled: 1-line block ×11, first 2 shown]
	s_waitcnt lgkmcnt(0)
	s_barrier
	buffer_gl0_inv
	ds_write_b16 v4, v47
	ds_write_b16 v4, v57 offset:10
	ds_write_b16 v4, v24 offset:20
	ds_write_b16 v8, v17
	ds_write_b16 v8, v58 offset:10
	ds_write_b16 v8, v50 offset:20
	;; [unrolled: 3-line block ×4, first 2 shown]
	ds_write_b16 v25, v7
	v_add_nc_u32_e32 v4, -6, v3
	v_mov_b32_e32 v7, v5
	v_add_nc_u32_e32 v18, 6, v6
	v_mul_lo_u16 v20, 0x89, v37
	v_mov_b32_e32 v19, v5
	v_cndmask_b32_e64 v4, v4, v13, s0
	v_lshlrev_b64 v[7:8], 2, v[6:7]
	v_mul_lo_u16 v6, 0x89, v29
	v_lshrrev_b16 v22, 11, v20
	v_lshlrev_b64 v[18:19], 2, v[18:19]
	v_lshlrev_b32_e32 v4, 1, v4
	ds_write_b16 v25, v21 offset:10
	ds_write_b16 v25, v52 offset:20
	v_lshrrev_b16 v6, 11, v6
	v_mul_lo_u16 v22, v22, 15
	v_add_co_u32 v7, s0, s8, v7
	v_lshlrev_b64 v[16:17], 2, v[4:5]
	v_mul_lo_u16 v23, v6, 15
	v_add_co_ci_u32_e64 v8, s0, s9, v8, s0
	v_sub_nc_u16 v22, v12, v22
	s_waitcnt lgkmcnt(0)
	v_add_co_u32 v16, s0, s8, v16
	v_sub_nc_u16 v29, v10, v23
	v_add_co_ci_u32_e64 v17, s0, s9, v17, s0
	v_add_co_u32 v18, s0, s8, v18
	v_add_co_ci_u32_e64 v19, s0, s9, v19, s0
	v_lshlrev_b32_sdwa v23, v30, v29 dst_sel:DWORD dst_unused:UNUSED_PAD src0_sel:DWORD src1_sel:BYTE_0
	v_and_b32_e32 v30, 0xff, v22
	s_barrier
	buffer_gl0_inv
	s_clause 0x2
	global_load_dwordx2 v[20:21], v[7:8], off offset:40
	global_load_dwordx2 v[16:17], v[16:17], off offset:40
	;; [unrolled: 1-line block ×3, first 2 shown]
	v_lshlrev_b32_e32 v24, 3, v30
	global_load_dwordx2 v[22:23], v23, s[8:9] offset:40
	v_cmp_lt_u32_e64 s0, 5, v3
	v_and_b32_e32 v6, 0xffff, v6
	v_lshlrev_b32_sdwa v29, v51, v29 dst_sel:DWORD dst_unused:UNUSED_PAD src0_sel:DWORD src1_sel:BYTE_0
	global_load_dwordx2 v[24:25], v24, s[8:9] offset:40
	v_lshl_add_u32 v30, v30, 1, v15
	v_cndmask_b32_e64 v37, 0, 0x5a, s0
	v_mad_u32_u24 v6, 0x5a, v6, 0
	v_add_nc_u32_e32 v37, 0, v37
	v_add3_u32 v29, v6, v29, v14
	ds_read_u16 v6, v0 offset:90
	v_add3_u32 v4, v37, v4, v14
	ds_read_u16 v14, v0 offset:180
	ds_read_u16 v15, v0 offset:108
	;; [unrolled: 1-line block ×5, first 2 shown]
	ds_read_u16 v46, v9
	ds_read_u16 v47, v0 offset:18
	ds_read_u16 v48, v0 offset:36
	;; [unrolled: 1-line block ×8, first 2 shown]
	s_waitcnt vmcnt(0) lgkmcnt(0)
	s_barrier
	buffer_gl0_inv
	v_mul_f16_sdwa v55, v6, v20 dst_sel:DWORD dst_unused:UNUSED_PAD src0_sel:DWORD src1_sel:WORD_1
	v_mul_f16_sdwa v56, v35, v20 dst_sel:DWORD dst_unused:UNUSED_PAD src0_sel:DWORD src1_sel:WORD_1
	;; [unrolled: 1-line block ×5, first 2 shown]
	v_fmac_f16_e32 v55, v35, v20
	v_mul_f16_sdwa v35, v26, v16 dst_sel:DWORD dst_unused:UNUSED_PAD src0_sel:DWORD src1_sel:WORD_1
	v_fma_f16 v6, v6, v20, -v56
	v_mul_f16_sdwa v20, v37, v17 dst_sel:DWORD dst_unused:UNUSED_PAD src0_sel:DWORD src1_sel:WORD_1
	v_fmac_f16_e32 v57, v43, v21
	v_mul_f16_sdwa v43, v38, v17 dst_sel:DWORD dst_unused:UNUSED_PAD src0_sel:DWORD src1_sel:WORD_1
	v_fma_f16 v14, v14, v21, -v58
	v_mul_f16_sdwa v21, v41, v18 dst_sel:DWORD dst_unused:UNUSED_PAD src0_sel:DWORD src1_sel:WORD_1
	v_mul_f16_sdwa v56, v27, v18 dst_sel:DWORD dst_unused:UNUSED_PAD src0_sel:DWORD src1_sel:WORD_1
	;; [unrolled: 1-line block ×3, first 2 shown]
	v_fmac_f16_e32 v59, v26, v16
	v_mul_f16_sdwa v26, v39, v19 dst_sel:DWORD dst_unused:UNUSED_PAD src0_sel:DWORD src1_sel:WORD_1
	v_fma_f16 v15, v15, v16, -v35
	v_mul_f16_sdwa v16, v45, v22 dst_sel:DWORD dst_unused:UNUSED_PAD src0_sel:DWORD src1_sel:WORD_1
	v_fmac_f16_e32 v20, v38, v17
	v_mul_f16_sdwa v35, v28, v22 dst_sel:DWORD dst_unused:UNUSED_PAD src0_sel:DWORD src1_sel:WORD_1
	v_fma_f16 v17, v37, v17, -v43
	v_mul_f16_sdwa v37, v52, v23 dst_sel:DWORD dst_unused:UNUSED_PAD src0_sel:DWORD src1_sel:WORD_1
	v_mul_f16_sdwa v38, v40, v23 dst_sel:DWORD dst_unused:UNUSED_PAD src0_sel:DWORD src1_sel:WORD_1
	;; [unrolled: 1-line block ×3, first 2 shown]
	v_fmac_f16_e32 v21, v27, v18
	v_fma_f16 v18, v41, v18, -v56
	v_mul_f16_sdwa v41, v53, v25 dst_sel:DWORD dst_unused:UNUSED_PAD src0_sel:DWORD src1_sel:WORD_1
	v_mul_f16_sdwa v27, v44, v24 dst_sel:DWORD dst_unused:UNUSED_PAD src0_sel:DWORD src1_sel:WORD_1
	v_fmac_f16_e32 v58, v39, v19
	v_mul_f16_sdwa v39, v42, v25 dst_sel:DWORD dst_unused:UNUSED_PAD src0_sel:DWORD src1_sel:WORD_1
	v_fma_f16 v19, v51, v19, -v26
	v_fmac_f16_e32 v16, v28, v22
	v_fma_f16 v22, v45, v22, -v35
	v_fmac_f16_e32 v37, v40, v23
	;; [unrolled: 2-line block ×3, first 2 shown]
	v_fmac_f16_e32 v41, v42, v25
	v_add_f16_e32 v26, v31, v55
	v_add_f16_e32 v35, v46, v6
	v_fma_f16 v24, v54, v24, -v27
	v_add_f16_e32 v27, v55, v57
	v_fma_f16 v25, v53, v25, -v39
	v_sub_f16_e32 v28, v6, v14
	v_add_f16_e32 v6, v6, v14
	v_sub_f16_e32 v38, v55, v57
	v_add_f16_e32 v39, v32, v59
	v_add_f16_e32 v40, v59, v20
	v_sub_f16_e32 v45, v59, v20
	v_add_f16_e32 v52, v21, v58
	v_sub_f16_e32 v53, v18, v19
	v_add_f16_e32 v54, v48, v18
	v_add_f16_e32 v18, v18, v19
	;; [unrolled: 1-line block ×3, first 2 shown]
	v_sub_f16_e32 v59, v22, v23
	v_add_f16_e32 v26, v26, v57
	v_add_f16_e32 v57, v49, v22
	;; [unrolled: 1-line block ×5, first 2 shown]
	v_fmac_f16_e32 v31, -0.5, v27
	v_sub_f16_e32 v42, v15, v17
	v_add_f16_e32 v44, v47, v15
	v_add_f16_e32 v15, v15, v17
	;; [unrolled: 1-line block ×3, first 2 shown]
	v_sub_f16_e32 v21, v21, v58
	v_add_f16_e32 v55, v34, v16
	v_sub_f16_e32 v16, v16, v37
	v_add_f16_e32 v27, v36, v43
	v_fmac_f16_e32 v46, -0.5, v6
	v_sub_f16_e32 v6, v24, v25
	v_fmac_f16_e32 v32, -0.5, v40
	v_fmac_f16_e32 v33, -0.5, v52
	;; [unrolled: 1-line block ×6, first 2 shown]
	v_add_f16_e32 v20, v39, v20
	v_add_f16_e32 v39, v50, v24
	;; [unrolled: 1-line block ×3, first 2 shown]
	v_fmamk_f16 v14, v28, 0xbaee, v31
	v_fmac_f16_e32 v31, 0x3aee, v28
	v_sub_f16_e32 v43, v43, v41
	v_add_f16_e32 v40, v44, v17
	v_fmac_f16_e32 v47, -0.5, v15
	v_add_f16_e32 v15, v51, v58
	v_add_f16_e32 v44, v54, v19
	;; [unrolled: 1-line block ×4, first 2 shown]
	v_fmamk_f16 v19, v42, 0xbaee, v32
	v_fmac_f16_e32 v32, 0x3aee, v42
	v_fmamk_f16 v22, v53, 0xbaee, v33
	v_fmamk_f16 v41, v21, 0x3aee, v48
	v_fmac_f16_e32 v48, 0xbaee, v21
	v_fmamk_f16 v21, v59, 0xbaee, v34
	v_fmamk_f16 v42, v16, 0x3aee, v49
	v_fmac_f16_e32 v49, 0xbaee, v16
	v_fmamk_f16 v16, v6, 0xbaee, v36
	v_add_f16_e32 v37, v57, v23
	v_add_f16_e32 v39, v39, v25
	v_fmac_f16_e32 v50, -0.5, v24
	v_fmac_f16_e32 v33, 0x3aee, v53
	v_fmac_f16_e32 v34, 0x3aee, v59
	v_fmac_f16_e32 v36, 0x3aee, v6
	ds_write_b16 v0, v26
	ds_write_b16 v0, v14 offset:30
	ds_write_b16 v0, v31 offset:60
	ds_write_b16 v4, v20
	ds_write_b16 v4, v19 offset:30
	ds_write_b16 v4, v32 offset:60
	;; [unrolled: 1-line block ×5, first 2 shown]
	ds_write_b16 v29, v17
	ds_write_b16 v29, v21 offset:30
	ds_write_b16 v29, v34 offset:60
	;; [unrolled: 1-line block ×5, first 2 shown]
	s_waitcnt lgkmcnt(0)
	s_barrier
	buffer_gl0_inv
	ds_read_u16 v14, v9
	ds_read_u16 v6, v0 offset:18
	ds_read_u16 v15, v0 offset:36
	;; [unrolled: 1-line block ×14, first 2 shown]
	v_fmamk_f16 v28, v38, 0x3aee, v46
	v_fmac_f16_e32 v46, 0xbaee, v38
	v_fmamk_f16 v38, v45, 0x3aee, v47
	v_fmac_f16_e32 v47, 0xbaee, v45
	;; [unrolled: 2-line block ×3, first 2 shown]
	s_waitcnt lgkmcnt(0)
	s_barrier
	buffer_gl0_inv
	ds_write_b16 v0, v35
	ds_write_b16 v0, v28 offset:30
	ds_write_b16 v0, v46 offset:60
	ds_write_b16 v4, v40
	ds_write_b16 v4, v38 offset:30
	ds_write_b16 v4, v47 offset:60
	;; [unrolled: 1-line block ×5, first 2 shown]
	ds_write_b16 v29, v37
	ds_write_b16 v29, v42 offset:30
	ds_write_b16 v29, v49 offset:60
	;; [unrolled: 1-line block ×5, first 2 shown]
	s_waitcnt lgkmcnt(0)
	s_barrier
	buffer_gl0_inv
	s_and_saveexec_b32 s0, vcc_lo
	s_cbranch_execz .LBB0_12
; %bb.11:
	v_lshlrev_b32_e32 v4, 1, v12
	v_mul_hi_u32 v38, 0x6c16c16d, v10
	v_mul_hi_u32 v39, 0x6c16c16d, v12
	v_lshlrev_b64 v[28:29], 2, v[4:5]
	v_lshlrev_b32_e32 v4, 1, v10
	v_sub_nc_u32_e32 v10, v10, v38
	v_sub_nc_u32_e32 v12, v12, v39
	v_lshlrev_b64 v[30:31], 2, v[4:5]
	v_lshlrev_b32_e32 v4, 1, v11
	v_add_co_u32 v28, vcc_lo, s8, v28
	v_add_co_ci_u32_e32 v29, vcc_lo, s9, v29, vcc_lo
	v_lshlrev_b64 v[32:33], 2, v[4:5]
	v_lshlrev_b32_e32 v4, 1, v13
	v_add_co_u32 v30, vcc_lo, s8, v30
	global_load_dwordx2 v[28:29], v[28:29], off offset:160
	v_add_co_ci_u32_e32 v31, vcc_lo, s9, v31, vcc_lo
	v_lshlrev_b64 v[34:35], 2, v[4:5]
	v_add_co_u32 v32, vcc_lo, s8, v32
	global_load_dwordx2 v[30:31], v[30:31], off offset:160
	v_add_co_ci_u32_e32 v33, vcc_lo, s9, v33, vcc_lo
	v_add_co_u32 v34, vcc_lo, s8, v34
	v_add_co_ci_u32_e32 v35, vcc_lo, s9, v35, vcc_lo
	s_clause 0x1
	global_load_dwordx2 v[32:33], v[32:33], off offset:160
	global_load_dwordx2 v[7:8], v[7:8], off offset:160
	v_mul_hi_u32 v4, 0x6c16c16d, v11
	global_load_dwordx2 v[34:35], v[34:35], off offset:160
	v_lshrrev_b32_e32 v10, 1, v10
	ds_read_u16 v13, v0 offset:36
	ds_read_u16 v36, v0 offset:54
	;; [unrolled: 1-line block ×10, first 2 shown]
	v_lshrrev_b32_e32 v12, 1, v12
	v_add_nc_u32_e32 v38, v10, v38
	v_sub_nc_u32_e32 v11, v11, v4
	ds_read_u16 v47, v0 offset:126
	ds_read_u16 v48, v0 offset:108
	;; [unrolled: 1-line block ×4, first 2 shown]
	ds_read_u16 v51, v9
	v_add_nc_u32_e32 v0, v12, v39
	v_lshrrev_b32_e32 v11, 1, v11
	v_add_nc_u32_e32 v11, v11, v4
	v_mov_b32_e32 v4, v5
	v_lshrrev_b32_e32 v11, 5, v11
	v_lshlrev_b64 v[9:10], 2, v[3:4]
	v_lshrrev_b32_e32 v3, 5, v38
	v_lshrrev_b32_e32 v38, 5, v0
	v_mul_u32_u24_e32 v4, 0x5a, v11
	v_add_co_u32 v11, vcc_lo, s2, v1
	v_add_co_ci_u32_e32 v12, vcc_lo, s3, v2, vcc_lo
	v_lshlrev_b64 v[0:1], 2, v[4:5]
	v_mul_u32_u24_e32 v4, 0x5a, v3
	v_add_co_u32 v2, vcc_lo, v11, v9
	v_add_co_ci_u32_e32 v3, vcc_lo, v12, v10, vcc_lo
	v_lshlrev_b64 v[9:10], 2, v[4:5]
	;; [unrolled: 4-line block ×3, first 2 shown]
	v_add_co_u32 v9, vcc_lo, v2, v9
	v_add_co_ci_u32_e32 v10, vcc_lo, v3, v10, vcc_lo
	v_add_co_u32 v4, vcc_lo, v2, v4
	v_add_co_ci_u32_e32 v5, vcc_lo, v3, v5, vcc_lo
	s_waitcnt vmcnt(4)
	v_mul_f16_sdwa v11, v27, v28 dst_sel:DWORD dst_unused:UNUSED_PAD src0_sel:DWORD src1_sel:WORD_1
	v_mul_f16_sdwa v12, v26, v29 dst_sel:DWORD dst_unused:UNUSED_PAD src0_sel:DWORD src1_sel:WORD_1
	s_waitcnt lgkmcnt(6)
	v_mul_f16_sdwa v38, v45, v28 dst_sel:DWORD dst_unused:UNUSED_PAD src0_sel:DWORD src1_sel:WORD_1
	v_mul_f16_sdwa v39, v40, v29 dst_sel:DWORD dst_unused:UNUSED_PAD src0_sel:DWORD src1_sel:WORD_1
	v_fma_f16 v11, v45, v28, -v11
	v_fma_f16 v12, v40, v29, -v12
	v_fmac_f16_e32 v38, v27, v28
	v_fmac_f16_e32 v39, v26, v29
	s_waitcnt vmcnt(3)
	v_mul_f16_sdwa v26, v24, v30 dst_sel:DWORD dst_unused:UNUSED_PAD src0_sel:DWORD src1_sel:WORD_1
	v_mul_f16_sdwa v27, v25, v31 dst_sel:DWORD dst_unused:UNUSED_PAD src0_sel:DWORD src1_sel:WORD_1
	s_waitcnt lgkmcnt(5)
	v_mul_f16_sdwa v28, v46, v30 dst_sel:DWORD dst_unused:UNUSED_PAD src0_sel:DWORD src1_sel:WORD_1
	v_mul_f16_sdwa v29, v41, v31 dst_sel:DWORD dst_unused:UNUSED_PAD src0_sel:DWORD src1_sel:WORD_1
	v_add_f16_e32 v40, v11, v12
	v_sub_f16_e32 v45, v38, v39
	v_add_f16_e32 v52, v37, v11
	v_add_f16_e32 v53, v38, v39
	;; [unrolled: 1-line block ×3, first 2 shown]
	v_fma_f16 v26, v46, v30, -v26
	v_fma_f16 v27, v41, v31, -v27
	v_fmac_f16_e32 v28, v24, v30
	v_fmac_f16_e32 v29, v25, v31
	s_waitcnt vmcnt(2)
	v_mul_f16_sdwa v24, v20, v32 dst_sel:DWORD dst_unused:UNUSED_PAD src0_sel:DWORD src1_sel:WORD_1
	v_mul_f16_sdwa v25, v22, v33 dst_sel:DWORD dst_unused:UNUSED_PAD src0_sel:DWORD src1_sel:WORD_1
	s_waitcnt lgkmcnt(4)
	v_mul_f16_sdwa v30, v47, v32 dst_sel:DWORD dst_unused:UNUSED_PAD src0_sel:DWORD src1_sel:WORD_1
	v_mul_f16_sdwa v31, v42, v33 dst_sel:DWORD dst_unused:UNUSED_PAD src0_sel:DWORD src1_sel:WORD_1
	s_waitcnt vmcnt(1)
	v_mul_f16_sdwa v41, v19, v7 dst_sel:DWORD dst_unused:UNUSED_PAD src0_sel:DWORD src1_sel:WORD_1
	v_mul_f16_sdwa v46, v21, v8 dst_sel:DWORD dst_unused:UNUSED_PAD src0_sel:DWORD src1_sel:WORD_1
	s_waitcnt lgkmcnt(2)
	v_mul_f16_sdwa v54, v49, v7 dst_sel:DWORD dst_unused:UNUSED_PAD src0_sel:DWORD src1_sel:WORD_1
	v_mul_f16_sdwa v55, v44, v8 dst_sel:DWORD dst_unused:UNUSED_PAD src0_sel:DWORD src1_sel:WORD_1
	v_sub_f16_e32 v11, v11, v12
	v_fma_f16 v37, -0.5, v40, v37
	v_add_f16_e32 v12, v52, v12
	v_fma_f16 v23, -0.5, v53, v23
	v_add_f16_e32 v38, v38, v39
	v_add_f16_e32 v39, v26, v27
	v_sub_f16_e32 v40, v28, v29
	v_add_f16_e32 v52, v36, v26
	v_add_f16_e32 v53, v28, v29
	;; [unrolled: 1-line block ×3, first 2 shown]
	v_fma_f16 v24, v47, v32, -v24
	v_fma_f16 v25, v42, v33, -v25
	v_fmac_f16_e32 v30, v20, v32
	v_fmac_f16_e32 v31, v22, v33
	s_waitcnt vmcnt(0)
	v_mul_f16_sdwa v20, v16, v34 dst_sel:DWORD dst_unused:UNUSED_PAD src0_sel:DWORD src1_sel:WORD_1
	v_mul_f16_sdwa v22, v17, v35 dst_sel:DWORD dst_unused:UNUSED_PAD src0_sel:DWORD src1_sel:WORD_1
	;; [unrolled: 1-line block ×4, first 2 shown]
	v_fma_f16 v41, v49, v7, -v41
	v_fma_f16 v42, v44, v8, -v46
	v_fmac_f16_e32 v54, v19, v7
	v_fmac_f16_e32 v55, v21, v8
	v_sub_f16_e32 v26, v26, v27
	v_fmamk_f16 v8, v11, 0x3aee, v23
	v_fmac_f16_e32 v23, 0xbaee, v11
	v_fma_f16 v11, -0.5, v39, v36
	v_add_f16_e32 v19, v52, v27
	v_fma_f16 v18, -0.5, v53, v18
	v_add_f16_e32 v21, v28, v29
	v_add_f16_e32 v27, v24, v25
	v_sub_f16_e32 v28, v30, v31
	v_add_f16_e32 v36, v30, v31
	v_add_f16_e32 v30, v15, v30
	v_fma_f16 v20, v48, v34, -v20
	v_fma_f16 v22, v43, v35, -v22
	v_fmac_f16_e32 v32, v16, v34
	v_fmac_f16_e32 v33, v17, v35
	v_add_f16_e32 v16, v41, v42
	v_add_f16_e32 v35, v54, v55
	;; [unrolled: 1-line block ×3, first 2 shown]
	v_fmamk_f16 v7, v45, 0xbaee, v37
	v_fmac_f16_e32 v37, 0x3aee, v45
	v_sub_f16_e32 v24, v24, v25
	v_pack_b32_f16 v12, v38, v12
	v_fmamk_f16 v38, v40, 0xbaee, v11
	v_fmac_f16_e32 v11, 0x3aee, v40
	v_fmamk_f16 v40, v26, 0x3aee, v18
	v_fmac_f16_e32 v18, 0xbaee, v26
	v_fma_f16 v13, -0.5, v27, v13
	v_fma_f16 v15, -0.5, v36, v15
	v_add_f16_e32 v26, v30, v31
	v_add_f16_e32 v27, v20, v22
	;; [unrolled: 1-line block ×3, first 2 shown]
	v_sub_f16_e32 v17, v54, v55
	s_waitcnt lgkmcnt(0)
	v_add_f16_e32 v34, v51, v41
	v_sub_f16_e32 v39, v41, v42
	v_add_f16_e32 v41, v14, v54
	v_fma_f16 v16, -0.5, v16, v51
	v_fma_f16 v14, -0.5, v35, v14
	v_add_f16_e32 v25, v29, v25
	v_sub_f16_e32 v29, v32, v33
	v_add_f16_e32 v30, v50, v20
	v_add_f16_e32 v32, v6, v32
	v_sub_f16_e32 v20, v20, v22
	v_pack_b32_f16 v19, v21, v19
	v_pack_b32_f16 v21, v23, v37
	v_fmamk_f16 v23, v24, 0x3aee, v15
	v_fmac_f16_e32 v15, 0xbaee, v24
	v_fma_f16 v24, -0.5, v27, v50
	v_fma_f16 v6, -0.5, v31, v6
	v_pack_b32_f16 v7, v8, v7
	v_fmamk_f16 v8, v28, 0xbaee, v13
	v_fmac_f16_e32 v13, 0x3aee, v28
	v_fmamk_f16 v28, v17, 0xbaee, v16
	v_fmac_f16_e32 v16, 0x3aee, v17
	;; [unrolled: 2-line block ×3, first 2 shown]
	v_add_f16_e32 v34, v34, v42
	v_add_f16_e32 v35, v41, v55
	;; [unrolled: 1-line block ×4, first 2 shown]
	v_pack_b32_f16 v25, v26, v25
	v_fmamk_f16 v26, v29, 0xbaee, v24
	v_fmac_f16_e32 v24, 0x3aee, v29
	v_fmamk_f16 v29, v20, 0x3aee, v6
	v_fmac_f16_e32 v6, 0xbaee, v20
	v_pack_b32_f16 v14, v14, v16
	v_pack_b32_f16 v30, v35, v34
	;; [unrolled: 1-line block ×6, first 2 shown]
	global_store_dword v[2:3], v14, off offset:180
	v_pack_b32_f16 v14, v29, v26
	v_pack_b32_f16 v11, v18, v11
	;; [unrolled: 1-line block ×3, first 2 shown]
	global_store_dword v[2:3], v30, off
	v_pack_b32_f16 v13, v15, v13
	global_store_dword v[2:3], v16, off offset:360
	global_store_dword v[2:3], v17, off offset:36
	;; [unrolled: 1-line block ×13, first 2 shown]
.LBB0_12:
	s_endpgm
	.section	.rodata,"a",@progbits
	.p2align	6, 0x0
	.amdhsa_kernel fft_rtc_back_len135_factors_5_3_3_3_wgs_126_tpt_9_halfLds_half_ip_CI_unitstride_sbrr_dirReg
		.amdhsa_group_segment_fixed_size 0
		.amdhsa_private_segment_fixed_size 0
		.amdhsa_kernarg_size 88
		.amdhsa_user_sgpr_count 6
		.amdhsa_user_sgpr_private_segment_buffer 1
		.amdhsa_user_sgpr_dispatch_ptr 0
		.amdhsa_user_sgpr_queue_ptr 0
		.amdhsa_user_sgpr_kernarg_segment_ptr 1
		.amdhsa_user_sgpr_dispatch_id 0
		.amdhsa_user_sgpr_flat_scratch_init 0
		.amdhsa_user_sgpr_private_segment_size 0
		.amdhsa_wavefront_size32 1
		.amdhsa_uses_dynamic_stack 0
		.amdhsa_system_sgpr_private_segment_wavefront_offset 0
		.amdhsa_system_sgpr_workgroup_id_x 1
		.amdhsa_system_sgpr_workgroup_id_y 0
		.amdhsa_system_sgpr_workgroup_id_z 0
		.amdhsa_system_sgpr_workgroup_info 0
		.amdhsa_system_vgpr_workitem_id 0
		.amdhsa_next_free_vgpr 60
		.amdhsa_next_free_sgpr 21
		.amdhsa_reserve_vcc 1
		.amdhsa_reserve_flat_scratch 0
		.amdhsa_float_round_mode_32 0
		.amdhsa_float_round_mode_16_64 0
		.amdhsa_float_denorm_mode_32 3
		.amdhsa_float_denorm_mode_16_64 3
		.amdhsa_dx10_clamp 1
		.amdhsa_ieee_mode 1
		.amdhsa_fp16_overflow 0
		.amdhsa_workgroup_processor_mode 1
		.amdhsa_memory_ordered 1
		.amdhsa_forward_progress 0
		.amdhsa_shared_vgpr_count 0
		.amdhsa_exception_fp_ieee_invalid_op 0
		.amdhsa_exception_fp_denorm_src 0
		.amdhsa_exception_fp_ieee_div_zero 0
		.amdhsa_exception_fp_ieee_overflow 0
		.amdhsa_exception_fp_ieee_underflow 0
		.amdhsa_exception_fp_ieee_inexact 0
		.amdhsa_exception_int_div_zero 0
	.end_amdhsa_kernel
	.text
.Lfunc_end0:
	.size	fft_rtc_back_len135_factors_5_3_3_3_wgs_126_tpt_9_halfLds_half_ip_CI_unitstride_sbrr_dirReg, .Lfunc_end0-fft_rtc_back_len135_factors_5_3_3_3_wgs_126_tpt_9_halfLds_half_ip_CI_unitstride_sbrr_dirReg
                                        ; -- End function
	.section	.AMDGPU.csdata,"",@progbits
; Kernel info:
; codeLenInByte = 7500
; NumSgprs: 23
; NumVgprs: 60
; ScratchSize: 0
; MemoryBound: 0
; FloatMode: 240
; IeeeMode: 1
; LDSByteSize: 0 bytes/workgroup (compile time only)
; SGPRBlocks: 2
; VGPRBlocks: 7
; NumSGPRsForWavesPerEU: 23
; NumVGPRsForWavesPerEU: 60
; Occupancy: 16
; WaveLimiterHint : 1
; COMPUTE_PGM_RSRC2:SCRATCH_EN: 0
; COMPUTE_PGM_RSRC2:USER_SGPR: 6
; COMPUTE_PGM_RSRC2:TRAP_HANDLER: 0
; COMPUTE_PGM_RSRC2:TGID_X_EN: 1
; COMPUTE_PGM_RSRC2:TGID_Y_EN: 0
; COMPUTE_PGM_RSRC2:TGID_Z_EN: 0
; COMPUTE_PGM_RSRC2:TIDIG_COMP_CNT: 0
	.text
	.p2alignl 6, 3214868480
	.fill 48, 4, 3214868480
	.type	__hip_cuid_3563342ad346d65,@object ; @__hip_cuid_3563342ad346d65
	.section	.bss,"aw",@nobits
	.globl	__hip_cuid_3563342ad346d65
__hip_cuid_3563342ad346d65:
	.byte	0                               ; 0x0
	.size	__hip_cuid_3563342ad346d65, 1

	.ident	"AMD clang version 19.0.0git (https://github.com/RadeonOpenCompute/llvm-project roc-6.4.0 25133 c7fe45cf4b819c5991fe208aaa96edf142730f1d)"
	.section	".note.GNU-stack","",@progbits
	.addrsig
	.addrsig_sym __hip_cuid_3563342ad346d65
	.amdgpu_metadata
---
amdhsa.kernels:
  - .args:
      - .actual_access:  read_only
        .address_space:  global
        .offset:         0
        .size:           8
        .value_kind:     global_buffer
      - .offset:         8
        .size:           8
        .value_kind:     by_value
      - .actual_access:  read_only
        .address_space:  global
        .offset:         16
        .size:           8
        .value_kind:     global_buffer
      - .actual_access:  read_only
        .address_space:  global
        .offset:         24
        .size:           8
        .value_kind:     global_buffer
      - .offset:         32
        .size:           8
        .value_kind:     by_value
      - .actual_access:  read_only
        .address_space:  global
        .offset:         40
        .size:           8
        .value_kind:     global_buffer
      - .actual_access:  read_only
        .address_space:  global
        .offset:         48
        .size:           8
        .value_kind:     global_buffer
      - .offset:         56
        .size:           4
        .value_kind:     by_value
      - .actual_access:  read_only
        .address_space:  global
        .offset:         64
        .size:           8
        .value_kind:     global_buffer
      - .actual_access:  read_only
        .address_space:  global
        .offset:         72
        .size:           8
        .value_kind:     global_buffer
      - .address_space:  global
        .offset:         80
        .size:           8
        .value_kind:     global_buffer
    .group_segment_fixed_size: 0
    .kernarg_segment_align: 8
    .kernarg_segment_size: 88
    .language:       OpenCL C
    .language_version:
      - 2
      - 0
    .max_flat_workgroup_size: 126
    .name:           fft_rtc_back_len135_factors_5_3_3_3_wgs_126_tpt_9_halfLds_half_ip_CI_unitstride_sbrr_dirReg
    .private_segment_fixed_size: 0
    .sgpr_count:     23
    .sgpr_spill_count: 0
    .symbol:         fft_rtc_back_len135_factors_5_3_3_3_wgs_126_tpt_9_halfLds_half_ip_CI_unitstride_sbrr_dirReg.kd
    .uniform_work_group_size: 1
    .uses_dynamic_stack: false
    .vgpr_count:     60
    .vgpr_spill_count: 0
    .wavefront_size: 32
    .workgroup_processor_mode: 1
amdhsa.target:   amdgcn-amd-amdhsa--gfx1030
amdhsa.version:
  - 1
  - 2
...

	.end_amdgpu_metadata
